;; amdgpu-corpus repo=ROCm/rocFFT kind=compiled arch=gfx906 opt=O3
	.text
	.amdgcn_target "amdgcn-amd-amdhsa--gfx906"
	.amdhsa_code_object_version 6
	.protected	fft_rtc_fwd_len1372_factors_2_2_7_7_7_wgs_196_tpt_98_halfLds_sp_op_CI_CI_sbrr_dirReg ; -- Begin function fft_rtc_fwd_len1372_factors_2_2_7_7_7_wgs_196_tpt_98_halfLds_sp_op_CI_CI_sbrr_dirReg
	.globl	fft_rtc_fwd_len1372_factors_2_2_7_7_7_wgs_196_tpt_98_halfLds_sp_op_CI_CI_sbrr_dirReg
	.p2align	8
	.type	fft_rtc_fwd_len1372_factors_2_2_7_7_7_wgs_196_tpt_98_halfLds_sp_op_CI_CI_sbrr_dirReg,@function
fft_rtc_fwd_len1372_factors_2_2_7_7_7_wgs_196_tpt_98_halfLds_sp_op_CI_CI_sbrr_dirReg: ; @fft_rtc_fwd_len1372_factors_2_2_7_7_7_wgs_196_tpt_98_halfLds_sp_op_CI_CI_sbrr_dirReg
; %bb.0:
	s_load_dwordx4 s[16:19], s[4:5], 0x18
	s_load_dwordx4 s[12:15], s[4:5], 0x0
	;; [unrolled: 1-line block ×3, first 2 shown]
	v_mul_u32_u24_e32 v1, 0x29d, v0
	v_lshrrev_b32_e32 v36, 16, v1
	s_waitcnt lgkmcnt(0)
	s_load_dwordx2 s[20:21], s[16:17], 0x0
	s_load_dwordx2 s[2:3], s[18:19], 0x0
	v_cmp_lt_u64_e64 s[0:1], s[14:15], 2
	v_mov_b32_e32 v7, 0
	v_mov_b32_e32 v5, 0
	v_lshl_add_u32 v9, s6, 1, v36
	v_mov_b32_e32 v10, v7
	s_and_b64 vcc, exec, s[0:1]
	v_mov_b32_e32 v6, 0
	s_cbranch_vccnz .LBB0_8
; %bb.1:
	s_load_dwordx2 s[0:1], s[4:5], 0x10
	s_add_u32 s6, s18, 8
	s_addc_u32 s7, s19, 0
	s_add_u32 s22, s16, 8
	s_addc_u32 s23, s17, 0
	v_mov_b32_e32 v5, 0
	s_waitcnt lgkmcnt(0)
	s_add_u32 s24, s0, 8
	v_mov_b32_e32 v6, 0
	v_mov_b32_e32 v1, v5
	s_addc_u32 s25, s1, 0
	s_mov_b64 s[26:27], 1
	v_mov_b32_e32 v2, v6
.LBB0_2:                                ; =>This Inner Loop Header: Depth=1
	s_load_dwordx2 s[28:29], s[24:25], 0x0
                                        ; implicit-def: $vgpr3_vgpr4
	s_waitcnt lgkmcnt(0)
	v_or_b32_e32 v8, s29, v10
	v_cmp_ne_u64_e32 vcc, 0, v[7:8]
	s_and_saveexec_b64 s[0:1], vcc
	s_xor_b64 s[30:31], exec, s[0:1]
	s_cbranch_execz .LBB0_4
; %bb.3:                                ;   in Loop: Header=BB0_2 Depth=1
	v_cvt_f32_u32_e32 v3, s28
	v_cvt_f32_u32_e32 v4, s29
	s_sub_u32 s0, 0, s28
	s_subb_u32 s1, 0, s29
	v_mac_f32_e32 v3, 0x4f800000, v4
	v_rcp_f32_e32 v3, v3
	v_mul_f32_e32 v3, 0x5f7ffffc, v3
	v_mul_f32_e32 v4, 0x2f800000, v3
	v_trunc_f32_e32 v4, v4
	v_mac_f32_e32 v3, 0xcf800000, v4
	v_cvt_u32_f32_e32 v4, v4
	v_cvt_u32_f32_e32 v3, v3
	v_mul_lo_u32 v8, s0, v4
	v_mul_hi_u32 v11, s0, v3
	v_mul_lo_u32 v13, s1, v3
	v_mul_lo_u32 v12, s0, v3
	v_add_u32_e32 v8, v11, v8
	v_add_u32_e32 v8, v8, v13
	v_mul_hi_u32 v11, v3, v12
	v_mul_lo_u32 v13, v3, v8
	v_mul_hi_u32 v15, v3, v8
	v_mul_hi_u32 v14, v4, v12
	v_mul_lo_u32 v12, v4, v12
	v_mul_hi_u32 v16, v4, v8
	v_add_co_u32_e32 v11, vcc, v11, v13
	v_addc_co_u32_e32 v13, vcc, 0, v15, vcc
	v_mul_lo_u32 v8, v4, v8
	v_add_co_u32_e32 v11, vcc, v11, v12
	v_addc_co_u32_e32 v11, vcc, v13, v14, vcc
	v_addc_co_u32_e32 v12, vcc, 0, v16, vcc
	v_add_co_u32_e32 v8, vcc, v11, v8
	v_addc_co_u32_e32 v11, vcc, 0, v12, vcc
	v_add_co_u32_e32 v3, vcc, v3, v8
	v_addc_co_u32_e32 v4, vcc, v4, v11, vcc
	v_mul_lo_u32 v8, s0, v4
	v_mul_hi_u32 v11, s0, v3
	v_mul_lo_u32 v12, s1, v3
	v_mul_lo_u32 v13, s0, v3
	v_add_u32_e32 v8, v11, v8
	v_add_u32_e32 v8, v8, v12
	v_mul_lo_u32 v14, v3, v8
	v_mul_hi_u32 v15, v3, v13
	v_mul_hi_u32 v16, v3, v8
	;; [unrolled: 1-line block ×3, first 2 shown]
	v_mul_lo_u32 v13, v4, v13
	v_mul_hi_u32 v11, v4, v8
	v_add_co_u32_e32 v14, vcc, v15, v14
	v_addc_co_u32_e32 v15, vcc, 0, v16, vcc
	v_mul_lo_u32 v8, v4, v8
	v_add_co_u32_e32 v13, vcc, v14, v13
	v_addc_co_u32_e32 v12, vcc, v15, v12, vcc
	v_addc_co_u32_e32 v11, vcc, 0, v11, vcc
	v_add_co_u32_e32 v8, vcc, v12, v8
	v_addc_co_u32_e32 v11, vcc, 0, v11, vcc
	v_add_co_u32_e32 v8, vcc, v3, v8
	v_addc_co_u32_e32 v11, vcc, v4, v11, vcc
	v_mad_u64_u32 v[3:4], s[0:1], v9, v11, 0
	v_mul_hi_u32 v12, v9, v8
	v_add_co_u32_e32 v13, vcc, v12, v3
	v_addc_co_u32_e32 v14, vcc, 0, v4, vcc
	v_mad_u64_u32 v[3:4], s[0:1], v10, v8, 0
	v_mad_u64_u32 v[11:12], s[0:1], v10, v11, 0
	v_add_co_u32_e32 v3, vcc, v13, v3
	v_addc_co_u32_e32 v3, vcc, v14, v4, vcc
	v_addc_co_u32_e32 v4, vcc, 0, v12, vcc
	v_add_co_u32_e32 v8, vcc, v3, v11
	v_addc_co_u32_e32 v11, vcc, 0, v4, vcc
	v_mul_lo_u32 v12, s29, v8
	v_mul_lo_u32 v13, s28, v11
	v_mad_u64_u32 v[3:4], s[0:1], s28, v8, 0
	v_add3_u32 v4, v4, v13, v12
	v_sub_u32_e32 v12, v10, v4
	v_mov_b32_e32 v13, s29
	v_sub_co_u32_e32 v3, vcc, v9, v3
	v_subb_co_u32_e64 v12, s[0:1], v12, v13, vcc
	v_subrev_co_u32_e64 v13, s[0:1], s28, v3
	v_subbrev_co_u32_e64 v12, s[0:1], 0, v12, s[0:1]
	v_cmp_le_u32_e64 s[0:1], s29, v12
	v_cndmask_b32_e64 v14, 0, -1, s[0:1]
	v_cmp_le_u32_e64 s[0:1], s28, v13
	v_cndmask_b32_e64 v13, 0, -1, s[0:1]
	v_cmp_eq_u32_e64 s[0:1], s29, v12
	v_cndmask_b32_e64 v12, v14, v13, s[0:1]
	v_add_co_u32_e64 v13, s[0:1], 2, v8
	v_addc_co_u32_e64 v14, s[0:1], 0, v11, s[0:1]
	v_add_co_u32_e64 v15, s[0:1], 1, v8
	v_addc_co_u32_e64 v16, s[0:1], 0, v11, s[0:1]
	v_subb_co_u32_e32 v4, vcc, v10, v4, vcc
	v_cmp_ne_u32_e64 s[0:1], 0, v12
	v_cmp_le_u32_e32 vcc, s29, v4
	v_cndmask_b32_e64 v12, v16, v14, s[0:1]
	v_cndmask_b32_e64 v14, 0, -1, vcc
	v_cmp_le_u32_e32 vcc, s28, v3
	v_cndmask_b32_e64 v3, 0, -1, vcc
	v_cmp_eq_u32_e32 vcc, s29, v4
	v_cndmask_b32_e32 v3, v14, v3, vcc
	v_cmp_ne_u32_e32 vcc, 0, v3
	v_cndmask_b32_e64 v3, v15, v13, s[0:1]
	v_cndmask_b32_e32 v4, v11, v12, vcc
	v_cndmask_b32_e32 v3, v8, v3, vcc
.LBB0_4:                                ;   in Loop: Header=BB0_2 Depth=1
	s_andn2_saveexec_b64 s[0:1], s[30:31]
	s_cbranch_execz .LBB0_6
; %bb.5:                                ;   in Loop: Header=BB0_2 Depth=1
	v_cvt_f32_u32_e32 v3, s28
	s_sub_i32 s30, 0, s28
	v_rcp_iflag_f32_e32 v3, v3
	v_mul_f32_e32 v3, 0x4f7ffffe, v3
	v_cvt_u32_f32_e32 v3, v3
	v_mul_lo_u32 v4, s30, v3
	v_mul_hi_u32 v4, v3, v4
	v_add_u32_e32 v3, v3, v4
	v_mul_hi_u32 v3, v9, v3
	v_mul_lo_u32 v4, v3, s28
	v_add_u32_e32 v8, 1, v3
	v_sub_u32_e32 v4, v9, v4
	v_subrev_u32_e32 v11, s28, v4
	v_cmp_le_u32_e32 vcc, s28, v4
	v_cndmask_b32_e32 v4, v4, v11, vcc
	v_cndmask_b32_e32 v3, v3, v8, vcc
	v_add_u32_e32 v8, 1, v3
	v_cmp_le_u32_e32 vcc, s28, v4
	v_cndmask_b32_e32 v3, v3, v8, vcc
	v_mov_b32_e32 v4, v7
.LBB0_6:                                ;   in Loop: Header=BB0_2 Depth=1
	s_or_b64 exec, exec, s[0:1]
	v_mul_lo_u32 v8, v4, s28
	v_mul_lo_u32 v13, v3, s29
	v_mad_u64_u32 v[11:12], s[0:1], v3, s28, 0
	s_load_dwordx2 s[0:1], s[22:23], 0x0
	s_load_dwordx2 s[28:29], s[6:7], 0x0
	v_add3_u32 v8, v12, v13, v8
	v_sub_co_u32_e32 v9, vcc, v9, v11
	v_subb_co_u32_e32 v8, vcc, v10, v8, vcc
	s_waitcnt lgkmcnt(0)
	v_mul_lo_u32 v10, s0, v8
	v_mul_lo_u32 v11, s1, v9
	v_mad_u64_u32 v[5:6], s[0:1], s0, v9, v[5:6]
	v_mul_lo_u32 v8, s28, v8
	v_mul_lo_u32 v12, s29, v9
	v_mad_u64_u32 v[1:2], s[0:1], s28, v9, v[1:2]
	s_add_u32 s26, s26, 1
	s_addc_u32 s27, s27, 0
	s_add_u32 s6, s6, 8
	v_add3_u32 v2, v12, v2, v8
	s_addc_u32 s7, s7, 0
	v_mov_b32_e32 v8, s14
	s_add_u32 s22, s22, 8
	v_mov_b32_e32 v9, s15
	s_addc_u32 s23, s23, 0
	v_cmp_ge_u64_e32 vcc, s[26:27], v[8:9]
	s_add_u32 s24, s24, 8
	v_add3_u32 v6, v11, v6, v10
	s_addc_u32 s25, s25, 0
	s_cbranch_vccnz .LBB0_9
; %bb.7:                                ;   in Loop: Header=BB0_2 Depth=1
	v_mov_b32_e32 v10, v4
	v_mov_b32_e32 v9, v3
	s_branch .LBB0_2
.LBB0_8:
	v_mov_b32_e32 v1, v5
	v_mov_b32_e32 v3, v9
	;; [unrolled: 1-line block ×4, first 2 shown]
.LBB0_9:
	s_load_dwordx2 s[0:1], s[4:5], 0x28
	s_lshl_b64 s[14:15], s[14:15], 3
	s_add_u32 s4, s18, s14
	s_addc_u32 s5, s19, s15
                                        ; implicit-def: $sgpr18_sgpr19
                                        ; implicit-def: $vgpr34
                                        ; implicit-def: $vgpr35
                                        ; implicit-def: $vgpr37
                                        ; implicit-def: $vgpr38
                                        ; implicit-def: $vgpr39
                                        ; implicit-def: $vgpr40
                                        ; implicit-def: $vgpr41
	s_waitcnt lgkmcnt(0)
	v_cmp_gt_u64_e32 vcc, s[0:1], v[3:4]
	v_cmp_le_u64_e64 s[0:1], s[0:1], v[3:4]
	s_and_saveexec_b64 s[6:7], s[0:1]
	s_xor_b64 s[0:1], exec, s[6:7]
; %bb.10:
	s_mov_b32 s6, 0x29cbc15
	v_mul_hi_u32 v5, v0, s6
	s_mov_b64 s[18:19], 0
	v_mul_u32_u24_e32 v5, 0x62, v5
	v_sub_u32_e32 v34, v0, v5
	v_add_u32_e32 v35, 0x62, v34
	v_add_u32_e32 v37, 0xc4, v34
	;; [unrolled: 1-line block ×6, first 2 shown]
                                        ; implicit-def: $vgpr0
                                        ; implicit-def: $vgpr5_vgpr6
; %bb.11:
	s_or_saveexec_b64 s[6:7], s[0:1]
	v_mov_b32_e32 v31, s19
	v_mov_b32_e32 v25, s19
	;; [unrolled: 1-line block ×14, first 2 shown]
                                        ; implicit-def: $vgpr33
                                        ; implicit-def: $vgpr11
                                        ; implicit-def: $vgpr9
                                        ; implicit-def: $vgpr7
                                        ; implicit-def: $vgpr13
                                        ; implicit-def: $vgpr15
                                        ; implicit-def: $vgpr19
	s_xor_b64 exec, exec, s[6:7]
	s_cbranch_execz .LBB0_13
; %bb.12:
	s_add_u32 s0, s16, s14
	s_mov_b32 s14, 0x29cbc15
	v_mul_hi_u32 v7, v0, s14
	s_addc_u32 s1, s17, s15
	s_load_dwordx2 s[0:1], s[0:1], 0x0
	v_lshlrev_b64 v[5:6], 3, v[5:6]
	v_mul_u32_u24_e32 v7, 0x62, v7
	v_sub_u32_e32 v34, v0, v7
	v_mad_u64_u32 v[7:8], s[14:15], s20, v34, 0
	s_waitcnt lgkmcnt(0)
	v_mul_lo_u32 v13, s1, v3
	v_mul_lo_u32 v14, s0, v4
	v_mad_u64_u32 v[9:10], s[0:1], s0, v3, 0
	v_mov_b32_e32 v0, v8
	v_mad_u64_u32 v[11:12], s[0:1], s21, v34, v[0:1]
	v_add3_u32 v10, v10, v14, v13
	v_lshlrev_b64 v[9:10], 3, v[9:10]
	v_mov_b32_e32 v8, v11
	v_mov_b32_e32 v0, s9
	v_add_co_u32_e64 v11, s[0:1], s8, v9
	v_add_u32_e32 v12, 0x2ae, v34
	v_addc_co_u32_e64 v0, s[0:1], v0, v10, s[0:1]
	v_mad_u64_u32 v[9:10], s[0:1], s20, v12, 0
	v_add_co_u32_e64 v14, s[0:1], v11, v5
	v_addc_co_u32_e64 v15, s[0:1], v0, v6, s[0:1]
	v_mov_b32_e32 v0, v10
	v_add_u32_e32 v35, 0x62, v34
	v_lshlrev_b64 v[5:6], 3, v[7:8]
	v_mad_u64_u32 v[7:8], s[0:1], s21, v12, v[0:1]
	v_mad_u64_u32 v[11:12], s[0:1], s20, v35, 0
	v_add_co_u32_e64 v28, s[0:1], v14, v5
	v_mov_b32_e32 v10, v7
	v_mov_b32_e32 v0, v12
	v_addc_co_u32_e64 v29, s[0:1], v15, v6, s[0:1]
	v_lshlrev_b64 v[5:6], 3, v[9:10]
	v_mad_u64_u32 v[7:8], s[0:1], s21, v35, v[0:1]
	v_add_u32_e32 v10, 0x310, v34
	v_mad_u64_u32 v[8:9], s[0:1], s20, v10, 0
	v_add_co_u32_e64 v42, s[0:1], v14, v5
	v_mov_b32_e32 v0, v9
	v_addc_co_u32_e64 v43, s[0:1], v15, v6, s[0:1]
	v_mov_b32_e32 v12, v7
	v_mad_u64_u32 v[9:10], s[0:1], s21, v10, v[0:1]
	v_add_u32_e32 v37, 0xc4, v34
	v_lshlrev_b64 v[5:6], 3, v[11:12]
	v_mad_u64_u32 v[10:11], s[0:1], s20, v37, 0
	v_add_co_u32_e64 v12, s[0:1], v14, v5
	v_mov_b32_e32 v0, v11
	v_addc_co_u32_e64 v13, s[0:1], v15, v6, s[0:1]
	v_lshlrev_b64 v[5:6], 3, v[8:9]
	v_mad_u64_u32 v[7:8], s[0:1], s21, v37, v[0:1]
	v_add_u32_e32 v16, 0x372, v34
	v_mad_u64_u32 v[8:9], s[0:1], s20, v16, 0
	v_add_co_u32_e64 v44, s[0:1], v14, v5
	v_mov_b32_e32 v11, v7
	v_mov_b32_e32 v0, v9
	v_addc_co_u32_e64 v45, s[0:1], v15, v6, s[0:1]
	v_lshlrev_b64 v[5:6], 3, v[10:11]
	v_mad_u64_u32 v[9:10], s[0:1], s21, v16, v[0:1]
	v_add_u32_e32 v38, 0x126, v34
	v_mad_u64_u32 v[10:11], s[0:1], s20, v38, 0
	v_add_co_u32_e64 v46, s[0:1], v14, v5
	v_mov_b32_e32 v0, v11
	v_addc_co_u32_e64 v47, s[0:1], v15, v6, s[0:1]
	v_lshlrev_b64 v[5:6], 3, v[8:9]
	v_mad_u64_u32 v[7:8], s[0:1], s21, v38, v[0:1]
	v_add_u32_e32 v16, 0x3d4, v34
	v_mad_u64_u32 v[8:9], s[0:1], s20, v16, 0
	v_add_co_u32_e64 v48, s[0:1], v14, v5
	v_mov_b32_e32 v11, v7
	v_mov_b32_e32 v0, v9
	v_addc_co_u32_e64 v49, s[0:1], v15, v6, s[0:1]
	v_lshlrev_b64 v[5:6], 3, v[10:11]
	v_mad_u64_u32 v[9:10], s[0:1], s21, v16, v[0:1]
	v_add_u32_e32 v39, 0x188, v34
	;; [unrolled: 15-line block ×4, first 2 shown]
	v_mad_u64_u32 v[10:11], s[0:1], s20, v41, 0
	v_add_co_u32_e64 v58, s[0:1], v14, v5
	v_mov_b32_e32 v0, v11
	v_addc_co_u32_e64 v59, s[0:1], v15, v6, s[0:1]
	v_lshlrev_b64 v[5:6], 3, v[8:9]
	v_mad_u64_u32 v[7:8], s[0:1], s21, v41, v[0:1]
	v_add_u32_e32 v16, 0x4fa, v34
	v_mad_u64_u32 v[8:9], s[0:1], s20, v16, 0
	v_add_co_u32_e64 v60, s[0:1], v14, v5
	v_mov_b32_e32 v11, v7
	v_mov_b32_e32 v0, v9
	v_addc_co_u32_e64 v61, s[0:1], v15, v6, s[0:1]
	v_lshlrev_b64 v[5:6], 3, v[10:11]
	v_mad_u64_u32 v[9:10], s[0:1], s21, v16, v[0:1]
	v_add_co_u32_e64 v62, s[0:1], v14, v5
	v_addc_co_u32_e64 v63, s[0:1], v15, v6, s[0:1]
	v_lshlrev_b64 v[5:6], 3, v[8:9]
	v_add_co_u32_e64 v64, s[0:1], v14, v5
	v_addc_co_u32_e64 v65, s[0:1], v15, v6, s[0:1]
	global_load_dwordx2 v[30:31], v[28:29], off
	global_load_dwordx2 v[32:33], v[42:43], off
	;; [unrolled: 1-line block ×12, first 2 shown]
                                        ; kill: killed $vgpr46 killed $vgpr47
                                        ; kill: killed $vgpr58 killed $vgpr59
                                        ; kill: killed $vgpr48 killed $vgpr49
                                        ; kill: killed $vgpr60 killed $vgpr61
                                        ; kill: killed $vgpr50 killed $vgpr51
                                        ; kill: killed $vgpr52 killed $vgpr53
                                        ; kill: killed $vgpr12 killed $vgpr13
                                        ; kill: killed $vgpr54 killed $vgpr55
                                        ; kill: killed $vgpr28 killed $vgpr29
                                        ; kill: killed $vgpr44 killed $vgpr45
                                        ; kill: killed $vgpr56 killed $vgpr57
                                        ; kill: killed $vgpr42 killed $vgpr43
	global_load_dwordx2 v[28:29], v[62:63], off
	global_load_dwordx2 v[12:13], v[64:65], off
.LBB0_13:
	s_or_b64 exec, exec, s[6:7]
	v_and_b32_e32 v0, 1, v36
	v_mov_b32_e32 v5, 0x1570
	v_cmp_eq_u32_e64 s[0:1], 1, v0
	s_waitcnt vmcnt(12)
	v_sub_f32_e32 v33, v31, v33
	v_cndmask_b32_e64 v5, 0, v5, s[0:1]
	v_sub_f32_e32 v43, v30, v32
	v_fma_f32 v32, v31, 2.0, -v33
	v_add_u32_e32 v31, 0, v5
	v_fma_f32 v42, v30, 2.0, -v43
	v_lshl_add_u32 v36, v34, 3, v31
	ds_write_b64 v36, v[42:43]
	s_waitcnt vmcnt(10)
	v_sub_f32_e32 v43, v24, v18
	v_fma_f32 v42, v24, 2.0, -v43
	v_lshl_add_u32 v48, v35, 3, v31
	ds_write_b64 v48, v[42:43]
	s_waitcnt vmcnt(8)
	v_sub_f32_e32 v43, v20, v14
	;; [unrolled: 5-line block ×5, first 2 shown]
	v_fma_f32 v42, v16, 2.0, -v43
	v_lshl_add_u32 v52, v40, 3, v31
	v_lshlrev_b32_e32 v6, 2, v34
	ds_write_b64 v52, v[42:43]
	s_waitcnt vmcnt(0)
	v_sub_f32_e32 v43, v28, v12
	v_add_u32_e32 v0, v31, v6
	v_sub_u32_e32 v12, v36, v6
	v_lshlrev_b32_e32 v6, 2, v35
	v_sub_u32_e32 v14, v48, v6
	v_lshlrev_b32_e32 v6, 2, v37
	;; [unrolled: 2-line block ×5, first 2 shown]
	v_fma_f32 v42, v28, 2.0, -v43
	v_lshl_add_u32 v53, v41, 3, v31
	v_sub_u32_e32 v22, v52, v6
	v_lshlrev_b32_e32 v6, 2, v41
	ds_write_b64 v53, v[42:43]
	s_load_dwordx2 s[0:1], s[4:5], 0x0
	s_waitcnt lgkmcnt(0)
	s_barrier
	v_sub_u32_e32 v24, v53, v6
	ds_read_b32 v54, v0
	v_add_u32_e32 v28, 0xa00, v12
	v_add_u32_e32 v30, 0xc00, v12
	;; [unrolled: 1-line block ×3, first 2 shown]
	ds_read_b32 v55, v16
	ds_read_b32 v56, v18
	;; [unrolled: 1-line block ×6, first 2 shown]
	ds_read_b32 v61, v12 offset:5096
	ds_read2_b32 v[42:43], v28 offset0:46 offset1:144
	ds_read2_b32 v[44:45], v30 offset0:114 offset1:212
	;; [unrolled: 1-line block ×3, first 2 shown]
	s_waitcnt lgkmcnt(0)
	s_barrier
	ds_write_b64 v36, v[32:33]
	v_sub_f32_e32 v33, v25, v19
	v_fma_f32 v32, v25, 2.0, -v33
	ds_write_b64 v48, v[32:33]
	v_sub_f32_e32 v33, v21, v15
	v_sub_f32_e32 v11, v27, v11
	;; [unrolled: 1-line block ×4, first 2 shown]
	v_fma_f32 v32, v21, 2.0, -v33
	v_fma_f32 v10, v27, 2.0, -v11
	;; [unrolled: 1-line block ×4, first 2 shown]
	ds_write_b64 v49, v[32:33]
	ds_write_b64 v50, v[10:11]
	;; [unrolled: 1-line block ×4, first 2 shown]
	v_sub_f32_e32 v7, v29, v13
	v_fma_f32 v6, v29, 2.0, -v7
	v_and_b32_e32 v10, 1, v34
	ds_write_b64 v53, v[6:7]
	v_lshlrev_b32_e32 v6, 3, v10
	s_waitcnt lgkmcnt(0)
	s_barrier
	global_load_dwordx2 v[6:7], v6, s[12:13]
	ds_read2_b32 v[8:9], v28 offset0:46 offset1:144
	s_movk_i32 s4, 0xfc
	v_lshlrev_b32_e32 v33, 1, v34
	v_and_or_b32 v33, v33, s4, v10
	v_lshl_add_u32 v52, v33, 2, v31
	s_movk_i32 s4, 0x1fc
	s_mov_b32 s5, 0xbf3bfb3b
	s_mov_b32 s6, 0x3f3bfb3b
	;; [unrolled: 1-line block ×3, first 2 shown]
	s_movk_i32 s8, 0x310
	s_waitcnt vmcnt(0)
	v_mul_f32_e32 v15, v42, v7
	v_mul_f32_e32 v17, v43, v7
	s_waitcnt lgkmcnt(0)
	v_mul_f32_e32 v11, v8, v7
	v_mul_f32_e32 v13, v9, v7
	v_fmac_f32_e32 v15, v8, v6
	v_fmac_f32_e32 v17, v9, v6
	ds_read2_b32 v[8:9], v30 offset0:114 offset1:212
	v_mul_f32_e32 v23, v44, v7
	v_mul_f32_e32 v25, v45, v7
	;; [unrolled: 1-line block ×3, first 2 shown]
	v_fma_f32 v11, v42, v6, -v11
	s_waitcnt lgkmcnt(0)
	v_mul_f32_e32 v19, v8, v7
	v_mul_f32_e32 v21, v9, v7
	v_fmac_f32_e32 v23, v8, v6
	v_fmac_f32_e32 v25, v9, v6
	ds_read2_b32 v[8:9], v26 offset0:54 offset1:152
	v_mul_f32_e32 v42, v47, v7
	v_fma_f32 v13, v43, v6, -v13
	v_fma_f32 v19, v44, v6, -v19
	;; [unrolled: 1-line block ×3, first 2 shown]
	s_waitcnt lgkmcnt(0)
	v_mul_f32_e32 v27, v8, v7
	v_fmac_f32_e32 v36, v8, v6
	ds_read_b32 v8, v12 offset:5096
	v_mul_f32_e32 v29, v9, v7
	v_fmac_f32_e32 v42, v9, v6
	v_fma_f32 v27, v46, v6, -v27
	v_fma_f32 v29, v47, v6, -v29
	s_waitcnt lgkmcnt(0)
	v_mul_f32_e32 v9, v8, v7
	v_mul_f32_e32 v7, v61, v7
	v_fma_f32 v9, v61, v6, -v9
	v_fmac_f32_e32 v7, v8, v6
	v_sub_f32_e32 v6, v54, v11
	v_fma_f32 v8, v54, 2.0, -v6
	ds_read_b32 v11, v16
	ds_read_b32 v43, v18
	;; [unrolled: 1-line block ×7, first 2 shown]
	s_waitcnt lgkmcnt(0)
	s_barrier
	ds_write2_b32 v52, v8, v6 offset1:2
	v_sub_f32_e32 v6, v60, v13
	v_lshlrev_b32_e32 v13, 1, v35
	v_and_or_b32 v13, v13, s4, v10
	v_fma_f32 v8, v60, 2.0, -v6
	v_lshl_add_u32 v13, v13, 2, v31
	ds_write2_b32 v13, v8, v6 offset1:2
	v_lshlrev_b32_e32 v6, 1, v37
	s_movk_i32 s4, 0x3fc
	v_sub_f32_e32 v8, v55, v19
	v_and_or_b32 v6, v6, s4, v10
	v_fma_f32 v19, v55, 2.0, -v8
	v_lshl_add_u32 v37, v6, 2, v31
	v_lshlrev_b32_e32 v6, 1, v38
	ds_write2_b32 v37, v19, v8 offset1:2
	v_sub_f32_e32 v8, v56, v21
	v_and_or_b32 v6, v6, s4, v10
	v_fma_f32 v19, v56, 2.0, -v8
	v_lshl_add_u32 v21, v6, 2, v31
	v_lshlrev_b32_e32 v6, 1, v39
	s_movk_i32 s4, 0x7fc
	ds_write2_b32 v21, v19, v8 offset1:2
	v_sub_f32_e32 v8, v57, v27
	v_and_or_b32 v6, v6, s4, v10
	v_fma_f32 v19, v57, 2.0, -v8
	v_lshl_add_u32 v27, v6, 2, v31
	v_lshlrev_b32_e32 v6, 1, v40
	ds_write2_b32 v27, v19, v8 offset1:2
	v_sub_f32_e32 v8, v58, v29
	v_and_or_b32 v6, v6, s4, v10
	v_fma_f32 v19, v58, 2.0, -v8
	v_lshl_add_u32 v29, v6, 2, v31
	v_lshlrev_b32_e32 v6, 1, v41
	s_movk_i32 s4, 0x5fc
	ds_write2_b32 v29, v19, v8 offset1:2
	v_and_or_b32 v6, v6, s4, v10
	v_sub_f32_e32 v8, v59, v9
	v_fma_f32 v9, v59, 2.0, -v8
	v_lshl_add_u32 v10, v6, 2, v31
	ds_write2_b32 v10, v9, v8 offset1:2
	v_sub_f32_e32 v8, v32, v15
	v_fma_f32 v9, v32, 2.0, -v8
	s_waitcnt lgkmcnt(0)
	s_barrier
	ds_read_b32 v53, v0
	ds_read_b32 v19, v24
	;; [unrolled: 1-line block ×7, first 2 shown]
	ds_read_b32 v56, v12 offset:5096
	ds_read2_b32 v[32:33], v28 offset0:46 offset1:144
	ds_read2_b32 v[46:47], v30 offset0:114 offset1:212
	;; [unrolled: 1-line block ×3, first 2 shown]
	s_waitcnt lgkmcnt(0)
	s_barrier
	ds_write2_b32 v52, v9, v8 offset1:2
	v_sub_f32_e32 v8, v51, v17
	v_fma_f32 v9, v51, 2.0, -v8
	ds_write2_b32 v13, v9, v8 offset1:2
	v_sub_f32_e32 v8, v11, v23
	v_fma_f32 v9, v11, 2.0, -v8
	;; [unrolled: 3-line block ×5, first 2 shown]
	v_sub_f32_e32 v7, v48, v7
	v_and_b32_e32 v57, 3, v34
	v_fma_f32 v11, v48, 2.0, -v7
	ds_write2_b32 v29, v9, v8 offset1:2
	ds_write2_b32 v10, v11, v7 offset1:2
	v_mul_u32_u24_e32 v7, 6, v57
	v_lshlrev_b32_e32 v27, 3, v7
	s_waitcnt lgkmcnt(0)
	s_barrier
	global_load_dwordx4 v[7:10], v27, s[12:13] offset:16
	ds_read_b32 v17, v16
	ds_read_b32 v21, v22
	v_and_b32_e32 v37, 3, v35
	ds_read2_b32 v[51:52], v28 offset0:46 offset1:144
	s_mov_b32 s4, 0x3f5ff5aa
	s_waitcnt vmcnt(0) lgkmcnt(2)
	v_mul_f32_e32 v11, v17, v8
	v_mul_f32_e32 v13, v15, v8
	v_fma_f32 v11, v15, v7, -v11
	v_fmac_f32_e32 v13, v17, v7
	ds_read_b32 v7, v20
	v_mul_f32_e32 v17, v38, v10
	s_waitcnt lgkmcnt(0)
	v_mul_f32_e32 v8, v7, v10
	v_fmac_f32_e32 v17, v7, v9
	v_mul_u32_u24_e32 v7, 6, v37
	v_lshlrev_b32_e32 v29, 3, v7
	v_fma_f32 v15, v38, v9, -v8
	global_load_dwordx4 v[38:41], v29, s[12:13] offset:16
	ds_read_b32 v9, v18
	s_waitcnt vmcnt(0)
	v_mul_f32_e32 v8, v55, v39
	s_waitcnt lgkmcnt(0)
	v_mul_f32_e32 v7, v9, v39
	v_fmac_f32_e32 v8, v9, v38
	v_mul_f32_e32 v9, v21, v41
	v_mul_f32_e32 v10, v54, v41
	v_fma_f32 v9, v54, v40, -v9
	v_fmac_f32_e32 v10, v21, v40
	global_load_dwordx4 v[39:42], v27, s[12:13] offset:32
	ds_read_b32 v21, v24
	v_fma_f32 v7, v55, v38, -v7
	s_waitcnt vmcnt(0) lgkmcnt(0)
	v_mul_f32_e32 v23, v21, v40
	v_fma_f32 v36, v19, v39, -v23
	v_mul_f32_e32 v38, v19, v40
	v_mul_f32_e32 v19, v52, v42
	;; [unrolled: 1-line block ×3, first 2 shown]
	v_fmac_f32_e32 v38, v21, v39
	v_fma_f32 v39, v33, v41, -v19
	v_fmac_f32_e32 v40, v52, v41
	global_load_dwordx4 v[41:44], v29, s[12:13] offset:32
	s_waitcnt vmcnt(0)
	v_mul_f32_e32 v19, v51, v42
	v_fma_f32 v19, v32, v41, -v19
	v_mul_f32_e32 v21, v32, v42
	ds_read2_b32 v[32:33], v30 offset0:114 offset1:212
	v_mul_f32_e32 v25, v46, v44
	v_fmac_f32_e32 v21, v51, v41
	v_sub_f32_e32 v51, v40, v38
	s_waitcnt lgkmcnt(0)
	v_mul_f32_e32 v23, v32, v44
	v_fma_f32 v23, v46, v43, -v23
	v_fmac_f32_e32 v25, v32, v43
	global_load_dwordx4 v[43:46], v27, s[12:13] offset:48
	s_waitcnt vmcnt(0)
	v_mul_f32_e32 v42, v47, v44
	v_mul_f32_e32 v27, v33, v44
	v_fmac_f32_e32 v42, v33, v43
	ds_read2_b32 v[32:33], v26 offset0:54 offset1:152
	v_fma_f32 v41, v47, v43, -v27
	v_mul_f32_e32 v44, v50, v46
	s_waitcnt lgkmcnt(0)
	v_mul_f32_e32 v27, v33, v46
	v_fma_f32 v43, v50, v45, -v27
	v_fmac_f32_e32 v44, v33, v45
	global_load_dwordx4 v[45:48], v29, s[12:13] offset:48
	v_sub_f32_e32 v50, v17, v42
	v_add_f32_e32 v52, v51, v50
	v_sub_f32_e32 v54, v51, v50
	v_mul_f32_e32 v54, 0xbf08b237, v54
	s_waitcnt vmcnt(0)
	v_mul_f32_e32 v27, v32, v46
	v_mul_f32_e32 v29, v49, v46
	v_fma_f32 v27, v49, v45, -v27
	v_fmac_f32_e32 v29, v32, v45
	ds_read_b32 v45, v12 offset:5096
	v_mul_f32_e32 v33, v56, v48
	v_add_f32_e32 v46, v15, v41
	v_sub_f32_e32 v15, v15, v41
	s_waitcnt lgkmcnt(0)
	v_mul_f32_e32 v32, v45, v48
	v_fmac_f32_e32 v33, v45, v47
	v_add_f32_e32 v45, v11, v43
	v_fma_f32 v32, v56, v47, -v32
	v_add_f32_e32 v47, v36, v39
	v_add_f32_e32 v48, v46, v45
	v_sub_f32_e32 v49, v46, v45
	v_sub_f32_e32 v45, v45, v47
	;; [unrolled: 1-line block ×3, first 2 shown]
	v_add_f32_e32 v47, v47, v48
	v_sub_f32_e32 v48, v13, v44
	v_sub_f32_e32 v51, v48, v51
	;; [unrolled: 1-line block ×3, first 2 shown]
	v_add_f32_e32 v48, v52, v48
	v_add_f32_e32 v52, v53, v47
	v_mov_b32_e32 v53, v52
	v_fmac_f32_e32 v53, 0xbf955555, v47
	v_lshrrev_b32_e32 v47, 2, v34
	v_mul_f32_e32 v45, 0x3f4a47b2, v45
	v_mul_u32_u24_e32 v47, 28, v47
	v_fma_f32 v55, v49, s5, -v45
	v_fmac_f32_e32 v45, 0x3d64c772, v46
	v_fma_f32 v56, v50, s4, -v54
	v_fmac_f32_e32 v54, 0x3eae86e6, v51
	v_or_b32_e32 v47, v47, v57
	v_add_f32_e32 v45, v45, v53
	v_fmac_f32_e32 v54, 0x3ee1c552, v48
	v_lshl_add_u32 v59, v47, 2, v31
	v_add_f32_e32 v47, v54, v45
	ds_read_b32 v57, v14
	ds_read_b32 v58, v0
	s_waitcnt lgkmcnt(0)
	s_barrier
	ds_write2_b32 v59, v52, v47 offset1:4
	v_mul_f32_e32 v46, 0x3d64c772, v46
	v_mul_f32_e32 v47, 0x3f5ff5aa, v50
	v_fma_f32 v46, v49, s6, -v46
	v_fma_f32 v47, v51, s7, -v47
	v_sub_f32_e32 v45, v45, v54
	v_add_f32_e32 v46, v46, v53
	v_add_f32_e32 v49, v55, v53
	v_fmac_f32_e32 v56, 0x3ee1c552, v48
	v_fmac_f32_e32 v47, 0x3ee1c552, v48
	ds_write_b32 v59, v45 offset:96
	v_lshrrev_b32_e32 v45, 2, v35
	v_sub_f32_e32 v48, v46, v56
	v_add_f32_e32 v50, v47, v49
	v_add_f32_e32 v46, v56, v46
	v_sub_f32_e32 v47, v49, v47
	v_mul_lo_u32 v45, v45, 28
	ds_write2_b32 v59, v46, v47 offset0:16 offset1:20
	v_add_f32_e32 v46, v7, v32
	v_add_f32_e32 v47, v9, v27
	ds_write2_b32 v59, v50, v48 offset0:8 offset1:12
	v_add_f32_e32 v48, v19, v23
	v_add_f32_e32 v49, v47, v46
	v_sub_f32_e32 v50, v47, v46
	v_sub_f32_e32 v46, v46, v48
	;; [unrolled: 1-line block ×3, first 2 shown]
	v_add_f32_e32 v48, v48, v49
	v_sub_f32_e32 v51, v10, v29
	v_sub_f32_e32 v52, v25, v21
	;; [unrolled: 1-line block ×3, first 2 shown]
	v_add_f32_e32 v53, v52, v51
	v_sub_f32_e32 v54, v52, v51
	v_add_f32_e32 v6, v6, v48
	v_or_b32_e32 v37, v45, v37
	v_sub_f32_e32 v52, v49, v52
	v_sub_f32_e32 v51, v51, v49
	v_add_f32_e32 v49, v53, v49
	v_mov_b32_e32 v53, v6
	v_lshl_add_u32 v31, v37, 2, v31
	v_mul_f32_e32 v37, 0x3f4a47b2, v46
	v_mul_f32_e32 v46, 0xbf08b237, v54
	v_fmac_f32_e32 v53, 0xbf955555, v48
	v_fma_f32 v45, v50, s5, -v37
	v_fmac_f32_e32 v37, 0x3d64c772, v47
	v_fma_f32 v48, v51, s4, -v46
	v_fmac_f32_e32 v46, 0x3eae86e6, v52
	v_add_f32_e32 v37, v37, v53
	v_fmac_f32_e32 v46, 0x3ee1c552, v49
	v_add_f32_e32 v54, v46, v37
	ds_write2_b32 v31, v6, v54 offset1:4
	v_mul_f32_e32 v6, 0x3d64c772, v47
	v_mul_f32_e32 v47, 0x3f5ff5aa, v51
	v_fma_f32 v6, v50, s6, -v6
	v_fma_f32 v47, v52, s7, -v47
	v_add_f32_e32 v6, v6, v53
	v_add_f32_e32 v45, v45, v53
	v_fmac_f32_e32 v48, 0x3ee1c552, v49
	v_fmac_f32_e32 v47, 0x3ee1c552, v49
	v_sub_f32_e32 v49, v6, v48
	v_add_f32_e32 v50, v47, v45
	v_add_f32_e32 v6, v48, v6
	v_sub_f32_e32 v45, v45, v47
	ds_write2_b32 v31, v6, v45 offset0:16 offset1:20
	v_add_f32_e32 v6, v13, v44
	v_add_f32_e32 v13, v17, v42
	;; [unrolled: 1-line block ×3, first 2 shown]
	v_sub_f32_e32 v36, v39, v36
	v_add_f32_e32 v38, v13, v6
	v_sub_f32_e32 v11, v11, v43
	v_sub_f32_e32 v39, v13, v6
	;; [unrolled: 1-line block ×4, first 2 shown]
	v_add_f32_e32 v17, v17, v38
	v_add_f32_e32 v38, v36, v15
	v_sub_f32_e32 v40, v36, v15
	v_sub_f32_e32 v36, v11, v36
	;; [unrolled: 1-line block ×3, first 2 shown]
	v_add_f32_e32 v11, v38, v11
	v_add_f32_e32 v38, v58, v17
	v_mov_b32_e32 v41, v38
	v_fmac_f32_e32 v41, 0xbf955555, v17
	v_sub_f32_e32 v17, v37, v46
	v_mul_f32_e32 v6, 0x3f4a47b2, v6
	v_mul_f32_e32 v37, 0xbf08b237, v40
	ds_write_b32 v31, v17 offset:96
	v_fma_f32 v17, v39, s5, -v6
	v_fmac_f32_e32 v6, 0x3d64c772, v13
	v_fma_f32 v40, v15, s4, -v37
	v_mul_f32_e32 v13, 0x3d64c772, v13
	v_mul_f32_e32 v15, 0x3f5ff5aa, v15
	v_fma_f32 v13, v39, s6, -v13
	v_fma_f32 v15, v36, s7, -v15
	v_fmac_f32_e32 v37, 0x3eae86e6, v36
	v_add_f32_e32 v13, v13, v41
	v_add_f32_e32 v17, v17, v41
	v_fmac_f32_e32 v40, 0x3ee1c552, v11
	v_fmac_f32_e32 v15, 0x3ee1c552, v11
	v_fmac_f32_e32 v37, 0x3ee1c552, v11
	v_add_f32_e32 v11, v40, v13
	v_sub_f32_e32 v36, v17, v15
	ds_write2_b32 v31, v50, v49 offset0:8 offset1:12
	v_add_f32_e32 v42, v6, v41
	s_waitcnt lgkmcnt(0)
	s_barrier
	ds_read_b32 v52, v0
	ds_read_b32 v53, v24
	;; [unrolled: 1-line block ×7, first 2 shown]
	ds_read_b32 v55, v12 offset:5096
	ds_read2_b32 v[46:47], v28 offset0:46 offset1:144
	ds_read2_b32 v[48:49], v30 offset0:114 offset1:212
	;; [unrolled: 1-line block ×3, first 2 shown]
	s_waitcnt lgkmcnt(0)
	s_barrier
	ds_write2_b32 v59, v36, v11 offset0:8 offset1:12
	v_sub_f32_e32 v11, v13, v40
	v_add_f32_e32 v13, v15, v17
	ds_write2_b32 v59, v11, v13 offset0:16 offset1:20
	v_add_f32_e32 v11, v37, v42
	v_add_f32_e32 v8, v8, v33
	;; [unrolled: 1-line block ×3, first 2 shown]
	ds_write_b32 v59, v11 offset:96
	v_sub_f32_e32 v9, v9, v27
	v_sub_f32_e32 v11, v23, v19
	v_add_f32_e32 v13, v21, v25
	v_add_f32_e32 v15, v10, v8
	v_sub_f32_e32 v7, v7, v32
	v_sub_f32_e32 v17, v10, v8
	;; [unrolled: 1-line block ×4, first 2 shown]
	v_add_f32_e32 v13, v13, v15
	v_add_f32_e32 v15, v11, v9
	v_sub_f32_e32 v19, v11, v9
	v_sub_f32_e32 v11, v7, v11
	;; [unrolled: 1-line block ×3, first 2 shown]
	v_add_f32_e32 v7, v15, v7
	v_add_f32_e32 v15, v57, v13
	v_mov_b32_e32 v21, v15
	v_fmac_f32_e32 v21, 0xbf955555, v13
	v_mul_f32_e32 v8, 0x3f4a47b2, v8
	v_mul_f32_e32 v13, 0x3d64c772, v10
	v_fma_f32 v13, v17, s6, -v13
	v_fma_f32 v17, v17, s5, -v8
	v_fmac_f32_e32 v8, 0x3d64c772, v10
	v_mul_f32_e32 v10, 0xbf08b237, v19
	v_mul_f32_e32 v19, 0x3f5ff5aa, v9
	v_fma_f32 v9, v9, s4, -v10
	v_fmac_f32_e32 v10, 0x3eae86e6, v11
	v_fma_f32 v11, v11, s7, -v19
	v_add_f32_e32 v8, v8, v21
	v_add_f32_e32 v13, v13, v21
	;; [unrolled: 1-line block ×3, first 2 shown]
	v_fmac_f32_e32 v10, 0x3ee1c552, v7
	v_fmac_f32_e32 v9, 0x3ee1c552, v7
	;; [unrolled: 1-line block ×3, first 2 shown]
	v_sub_f32_e32 v56, v42, v37
	v_add_f32_e32 v7, v9, v13
	v_sub_f32_e32 v9, v13, v9
	v_sub_f32_e32 v13, v17, v11
	v_add_f32_e32 v11, v11, v17
	v_sub_f32_e32 v17, v8, v10
	ds_write2_b32 v59, v38, v56 offset1:4
	v_add_f32_e32 v8, v10, v8
	ds_write2_b32 v31, v15, v17 offset1:4
	ds_write2_b32 v31, v13, v7 offset0:8 offset1:12
	ds_write2_b32 v31, v9, v11 offset0:16 offset1:20
	ds_write_b32 v31, v8 offset:96
	v_lshrrev_b16_e32 v7, 2, v34
	v_and_b32_e32 v7, 63, v7
	v_mul_lo_u16_e32 v7, 37, v7
	v_lshrrev_b16_e32 v27, 8, v7
	v_mul_lo_u16_e32 v7, 28, v27
	v_sub_u16_e32 v56, v34, v7
	v_mov_b32_e32 v11, 6
	v_mul_u32_u24_sdwa v7, v56, v11 dst_sel:DWORD dst_unused:UNUSED_PAD src0_sel:BYTE_0 src1_sel:DWORD
	v_lshlrev_b32_e32 v29, 3, v7
	s_waitcnt lgkmcnt(0)
	s_barrier
	global_load_dwordx4 v[36:39], v29, s[12:13] offset:208
	ds_read_b32 v9, v16
	ds_read_b32 v13, v20
	;; [unrolled: 1-line block ×4, first 2 shown]
	ds_read2_b32 v[31:32], v28 offset0:46 offset1:144
	v_mad_u32_u24 v27, v27, s8, 0
	s_waitcnt vmcnt(0)
	v_mul_f32_e32 v8, v54, v37
	v_mul_f32_e32 v10, v44, v39
	s_waitcnt lgkmcnt(4)
	v_mul_f32_e32 v7, v9, v37
	v_fmac_f32_e32 v8, v9, v36
	s_waitcnt lgkmcnt(3)
	v_mul_f32_e32 v9, v13, v39
	v_fmac_f32_e32 v10, v13, v38
	v_lshrrev_b16_e32 v13, 2, v35
	v_and_b32_e32 v13, 63, v13
	v_mul_lo_u16_e32 v13, 37, v13
	v_lshrrev_b16_e32 v40, 8, v13
	v_mul_lo_u16_e32 v13, 28, v40
	v_sub_u16_e32 v41, v35, v13
	v_mul_u32_u24_sdwa v11, v41, v11 dst_sel:DWORD dst_unused:UNUSED_PAD src0_sel:BYTE_0 src1_sel:DWORD
	v_fma_f32 v7, v54, v36, -v7
	v_lshlrev_b32_e32 v54, 3, v11
	v_fma_f32 v9, v44, v38, -v9
	global_load_dwordx4 v[36:39], v54, s[12:13] offset:208
	v_mad_u32_u24 v40, v40, s8, 0
	s_waitcnt vmcnt(0)
	v_mul_f32_e32 v13, v45, v37
	s_waitcnt lgkmcnt(1)
	v_mul_f32_e32 v11, v15, v37
	v_fmac_f32_e32 v13, v15, v36
	v_mul_f32_e32 v15, v19, v39
	v_fma_f32 v11, v45, v36, -v11
	v_fma_f32 v15, v43, v38, -v15
	v_mul_f32_e32 v17, v43, v39
	global_load_dwordx4 v[42:45], v29, s[12:13] offset:224
	v_fmac_f32_e32 v17, v19, v38
	ds_read_b32 v19, v24
	s_waitcnt vmcnt(0)
	v_mul_f32_e32 v37, v53, v43
	s_waitcnt lgkmcnt(0)
	v_mul_f32_e32 v21, v19, v43
	v_fmac_f32_e32 v37, v19, v42
	v_mul_f32_e32 v19, v32, v45
	v_mul_f32_e32 v39, v47, v45
	v_fma_f32 v36, v53, v42, -v21
	v_fma_f32 v38, v47, v44, -v19
	v_fmac_f32_e32 v39, v32, v44
	global_load_dwordx4 v[42:45], v54, s[12:13] offset:224
	v_sub_f32_e32 v53, v39, v37
	s_waitcnt vmcnt(0)
	v_mul_f32_e32 v21, v46, v43
	v_mul_f32_e32 v19, v31, v43
	v_fmac_f32_e32 v21, v31, v42
	ds_read2_b32 v[31:32], v30 offset0:114 offset1:212
	v_mul_f32_e32 v25, v48, v45
	v_fma_f32 v19, v46, v42, -v19
	s_waitcnt lgkmcnt(0)
	v_mul_f32_e32 v23, v31, v45
	v_fma_f32 v23, v48, v44, -v23
	v_fmac_f32_e32 v25, v31, v44
	global_load_dwordx4 v[44:47], v29, s[12:13] offset:240
	s_waitcnt vmcnt(0)
	v_mul_f32_e32 v43, v49, v45
	v_mul_f32_e32 v29, v32, v45
	v_fmac_f32_e32 v43, v32, v44
	ds_read2_b32 v[32:33], v26 offset0:54 offset1:152
	v_fma_f32 v42, v49, v44, -v29
	v_mul_f32_e32 v45, v51, v47
	s_waitcnt lgkmcnt(0)
	v_mul_f32_e32 v29, v33, v47
	v_fma_f32 v44, v51, v46, -v29
	v_fmac_f32_e32 v45, v33, v46
	global_load_dwordx4 v[46:49], v54, s[12:13] offset:240
	v_sub_f32_e32 v51, v10, v43
	v_add_f32_e32 v54, v53, v51
	s_waitcnt vmcnt(0)
	v_mul_f32_e32 v29, v32, v47
	v_mul_f32_e32 v31, v50, v47
	v_fma_f32 v29, v50, v46, -v29
	v_fmac_f32_e32 v31, v32, v46
	ds_read_b32 v46, v12 offset:5096
	v_mul_f32_e32 v33, v55, v49
	v_add_f32_e32 v47, v9, v42
	ds_read_b32 v58, v14
	ds_read_b32 v59, v0
	s_waitcnt lgkmcnt(0)
	v_mul_f32_e32 v32, v46, v49
	v_fmac_f32_e32 v33, v46, v48
	v_add_f32_e32 v46, v7, v44
	v_fma_f32 v32, v55, v48, -v32
	v_add_f32_e32 v48, v36, v38
	v_add_f32_e32 v49, v47, v46
	v_sub_f32_e32 v50, v47, v46
	v_sub_f32_e32 v46, v46, v48
	;; [unrolled: 1-line block ×3, first 2 shown]
	v_add_f32_e32 v48, v48, v49
	v_sub_f32_e32 v49, v8, v45
	v_add_f32_e32 v52, v52, v48
	v_sub_f32_e32 v55, v53, v51
	v_sub_f32_e32 v53, v49, v53
	;; [unrolled: 1-line block ×3, first 2 shown]
	v_add_f32_e32 v49, v54, v49
	v_mov_b32_e32 v54, v52
	v_fmac_f32_e32 v54, 0xbf955555, v48
	v_mov_b32_e32 v48, 2
	v_lshlrev_b32_sdwa v56, v48, v56 dst_sel:DWORD dst_unused:UNUSED_PAD src0_sel:DWORD src1_sel:BYTE_0
	v_mul_f32_e32 v46, 0x3f4a47b2, v46
	v_add3_u32 v27, v27, v56, v5
	v_mul_f32_e32 v55, 0xbf08b237, v55
	v_fma_f32 v56, v50, s5, -v46
	v_fmac_f32_e32 v46, 0x3d64c772, v47
	v_mul_f32_e32 v47, 0x3d64c772, v47
	v_fma_f32 v57, v51, s4, -v55
	v_fmac_f32_e32 v55, 0x3eae86e6, v53
	v_fma_f32 v47, v50, s6, -v47
	v_mul_f32_e32 v50, 0x3f5ff5aa, v51
	v_add_f32_e32 v46, v46, v54
	v_fmac_f32_e32 v55, 0x3ee1c552, v49
	v_fma_f32 v50, v53, s7, -v50
	v_add_f32_e32 v60, v55, v46
	v_add_f32_e32 v47, v47, v54
	;; [unrolled: 1-line block ×3, first 2 shown]
	v_fmac_f32_e32 v57, 0x3ee1c552, v49
	v_fmac_f32_e32 v50, 0x3ee1c552, v49
	s_barrier
	ds_write2_b32 v27, v52, v60 offset1:28
	v_sub_f32_e32 v49, v47, v57
	v_add_f32_e32 v52, v50, v51
	ds_write2_b32 v27, v52, v49 offset0:56 offset1:84
	v_add_f32_e32 v47, v57, v47
	v_sub_f32_e32 v49, v51, v50
	v_lshlrev_b32_sdwa v41, v48, v41 dst_sel:DWORD dst_unused:UNUSED_PAD src0_sel:DWORD src1_sel:BYTE_0
	ds_write2_b32 v27, v47, v49 offset0:112 offset1:140
	v_add3_u32 v47, v40, v41, v5
	v_add_f32_e32 v40, v11, v32
	v_add_f32_e32 v41, v15, v29
	v_sub_f32_e32 v5, v46, v55
	v_add_f32_e32 v46, v19, v23
	v_add_f32_e32 v48, v41, v40
	v_sub_f32_e32 v49, v41, v40
	v_sub_f32_e32 v40, v40, v46
	;; [unrolled: 1-line block ×3, first 2 shown]
	v_add_f32_e32 v46, v46, v48
	v_sub_f32_e32 v50, v17, v31
	v_sub_f32_e32 v51, v25, v21
	;; [unrolled: 1-line block ×3, first 2 shown]
	v_add_f32_e32 v52, v51, v50
	v_add_f32_e32 v6, v6, v46
	v_sub_f32_e32 v53, v51, v50
	v_sub_f32_e32 v51, v48, v51
	v_sub_f32_e32 v50, v50, v48
	v_add_f32_e32 v48, v52, v48
	v_mov_b32_e32 v52, v6
	v_fmac_f32_e32 v52, 0xbf955555, v46
	ds_write_b32 v27, v5 offset:672
	v_mul_f32_e32 v5, 0x3f4a47b2, v40
	v_mul_f32_e32 v46, 0xbf08b237, v53
	v_fma_f32 v40, v49, s5, -v5
	v_fmac_f32_e32 v5, 0x3d64c772, v41
	v_fma_f32 v53, v50, s4, -v46
	v_fmac_f32_e32 v46, 0x3eae86e6, v51
	v_add_f32_e32 v5, v5, v52
	v_fmac_f32_e32 v46, 0x3ee1c552, v48
	v_add_f32_e32 v54, v46, v5
	ds_write2_b32 v47, v6, v54 offset1:28
	v_mul_f32_e32 v6, 0x3d64c772, v41
	v_mul_f32_e32 v41, 0x3f5ff5aa, v50
	v_fma_f32 v6, v49, s6, -v6
	v_fma_f32 v41, v51, s7, -v41
	v_add_f32_e32 v6, v6, v52
	v_add_f32_e32 v40, v40, v52
	v_fmac_f32_e32 v53, 0x3ee1c552, v48
	v_fmac_f32_e32 v41, 0x3ee1c552, v48
	v_sub_f32_e32 v48, v6, v53
	v_add_f32_e32 v49, v41, v40
	v_add_f32_e32 v6, v53, v6
	v_sub_f32_e32 v40, v40, v41
	ds_write2_b32 v47, v6, v40 offset0:112 offset1:140
	v_add_f32_e32 v6, v8, v45
	v_add_f32_e32 v8, v10, v43
	;; [unrolled: 1-line block ×4, first 2 shown]
	v_sub_f32_e32 v7, v7, v44
	v_sub_f32_e32 v44, v8, v6
	;; [unrolled: 1-line block ×3, first 2 shown]
	v_add_f32_e32 v8, v10, v37
	v_sub_f32_e32 v6, v6, v10
	v_add_f32_e32 v51, v59, v8
	v_sub_f32_e32 v5, v5, v46
	v_sub_f32_e32 v9, v9, v42
	;; [unrolled: 1-line block ×3, first 2 shown]
	v_mov_b32_e32 v52, v51
	ds_write_b32 v47, v5 offset:672
	v_mul_f32_e32 v5, 0x3f4a47b2, v6
	v_add_f32_e32 v10, v36, v9
	v_sub_f32_e32 v37, v36, v9
	v_fmac_f32_e32 v52, 0xbf955555, v8
	v_fma_f32 v46, v44, s5, -v5
	v_fmac_f32_e32 v5, 0x3d64c772, v45
	ds_write2_b32 v47, v49, v48 offset0:56 offset1:84
	v_sub_f32_e32 v48, v7, v36
	v_sub_f32_e32 v49, v9, v7
	v_add_f32_e32 v50, v10, v7
	v_mul_f32_e32 v53, 0xbf08b237, v37
	v_add_f32_e32 v55, v5, v52
	s_waitcnt lgkmcnt(0)
	s_barrier
	ds_read_b32 v36, v0
	ds_read_b32 v38, v24
	;; [unrolled: 1-line block ×7, first 2 shown]
	ds_read_b32 v43, v12 offset:5096
	ds_read2_b32 v[7:8], v28 offset0:46 offset1:144
	ds_read2_b32 v[5:6], v30 offset0:114 offset1:212
	;; [unrolled: 1-line block ×3, first 2 shown]
	v_add_f32_e32 v13, v13, v33
	v_add_f32_e32 v17, v17, v31
	v_sub_f32_e32 v15, v15, v29
	v_sub_f32_e32 v19, v23, v19
	v_add_f32_e32 v21, v21, v25
	v_add_f32_e32 v23, v17, v13
	v_sub_f32_e32 v11, v11, v32
	v_sub_f32_e32 v25, v17, v13
	;; [unrolled: 1-line block ×4, first 2 shown]
	v_add_f32_e32 v21, v21, v23
	v_add_f32_e32 v23, v19, v15
	v_mul_f32_e32 v45, 0x3d64c772, v45
	v_sub_f32_e32 v29, v19, v15
	v_sub_f32_e32 v19, v11, v19
	;; [unrolled: 1-line block ×3, first 2 shown]
	v_add_f32_e32 v11, v23, v11
	v_add_f32_e32 v23, v58, v21
	v_fma_f32 v44, v44, s6, -v45
	v_mul_f32_e32 v45, 0x3f5ff5aa, v49
	v_mov_b32_e32 v31, v23
	v_fma_f32 v54, v49, s4, -v53
	v_fma_f32 v45, v48, s7, -v45
	v_fmac_f32_e32 v31, 0xbf955555, v21
	v_mul_f32_e32 v13, 0x3f4a47b2, v13
	v_mul_f32_e32 v21, 0x3d64c772, v17
	v_fmac_f32_e32 v53, 0x3eae86e6, v48
	v_add_f32_e32 v44, v44, v52
	v_add_f32_e32 v46, v46, v52
	v_fmac_f32_e32 v54, 0x3ee1c552, v50
	v_fmac_f32_e32 v45, 0x3ee1c552, v50
	v_fma_f32 v21, v25, s6, -v21
	v_fma_f32 v25, v25, s5, -v13
	v_fmac_f32_e32 v13, 0x3d64c772, v17
	v_mul_f32_e32 v17, 0xbf08b237, v29
	v_mul_f32_e32 v29, 0x3f5ff5aa, v15
	v_fmac_f32_e32 v53, 0x3ee1c552, v50
	v_add_f32_e32 v48, v54, v44
	v_sub_f32_e32 v49, v46, v45
	v_sub_f32_e32 v44, v44, v54
	v_add_f32_e32 v45, v45, v46
	v_fma_f32 v15, v15, s4, -v17
	v_fmac_f32_e32 v17, 0x3eae86e6, v19
	v_fma_f32 v19, v19, s7, -v29
	s_waitcnt lgkmcnt(0)
	s_barrier
	v_sub_f32_e32 v56, v55, v53
	ds_write2_b32 v27, v44, v45 offset0:112 offset1:140
	v_add_f32_e32 v44, v53, v55
	v_add_f32_e32 v13, v13, v31
	;; [unrolled: 1-line block ×4, first 2 shown]
	v_fmac_f32_e32 v17, 0x3ee1c552, v11
	v_fmac_f32_e32 v15, 0x3ee1c552, v11
	;; [unrolled: 1-line block ×3, first 2 shown]
	ds_write2_b32 v27, v51, v56 offset1:28
	ds_write2_b32 v27, v49, v48 offset0:56 offset1:84
	v_add_f32_e32 v11, v15, v21
	v_sub_f32_e32 v15, v21, v15
	v_sub_f32_e32 v21, v25, v19
	v_add_f32_e32 v19, v19, v25
	v_sub_f32_e32 v25, v13, v17
	v_add_f32_e32 v13, v17, v13
	ds_write_b32 v27, v44 offset:672
	ds_write2_b32 v47, v23, v25 offset1:28
	ds_write2_b32 v47, v21, v11 offset0:56 offset1:84
	ds_write2_b32 v47, v15, v19 offset0:112 offset1:140
	ds_write_b32 v47, v13 offset:672
	s_waitcnt lgkmcnt(0)
	s_barrier
	s_and_saveexec_b64 s[8:9], vcc
	s_cbranch_execz .LBB0_15
; %bb.14:
	v_mul_i32_i24_e32 v31, 6, v35
	v_mov_b32_e32 v32, 0
	v_lshlrev_b64 v[31:32], 3, v[31:32]
	v_mov_b32_e32 v11, s13
	v_add_co_u32_e32 v31, vcc, s12, v31
	v_addc_co_u32_e32 v32, vcc, v11, v32, vcc
	global_load_dwordx4 v[44:47], v[31:32], off offset:1568
	global_load_dwordx4 v[48:51], v[31:32], off offset:1552
	;; [unrolled: 1-line block ×3, first 2 shown]
	v_mul_lo_u32 v19, s1, v3
	v_mul_lo_u32 v21, s0, v4
	v_mad_u64_u32 v[3:4], s[0:1], s0, v3, 0
	ds_read2_b32 v[29:30], v30 offset0:114 offset1:212
	ds_read2_b32 v[27:28], v28 offset0:46 offset1:144
	;; [unrolled: 1-line block ×3, first 2 shown]
	v_mul_u32_u24_e32 v11, 6, v34
	ds_read_b32 v33, v24
	ds_read_b32 v23, v22
	;; [unrolled: 1-line block ×6, first 2 shown]
	ds_read_b32 v32, v12 offset:5096
	ds_read_b32 v0, v0
	v_lshlrev_b32_e32 v20, 3, v11
	global_load_dwordx4 v[11:14], v20, s[12:13] offset:1584
	global_load_dwordx4 v[15:18], v20, s[12:13] offset:1568
	v_add3_u32 v4, v4, v21, v19
	v_lshlrev_b64 v[3:4], 3, v[3:4]
	s_waitcnt vmcnt(4) lgkmcnt(10)
	v_mul_f32_e32 v19, v29, v47
	s_waitcnt lgkmcnt(9)
	v_mul_f32_e32 v21, v27, v45
	v_mul_f32_e32 v45, v7, v45
	;; [unrolled: 1-line block ×3, first 2 shown]
	v_fma_f32 v5, v5, v46, -v19
	v_fma_f32 v7, v7, v44, -v21
	global_load_dwordx4 v[19:22], v20, s[12:13] offset:1552
	v_fmac_f32_e32 v45, v44, v27
	s_waitcnt vmcnt(4) lgkmcnt(4)
	v_mul_f32_e32 v27, v24, v49
	v_fmac_f32_e32 v47, v46, v29
	s_waitcnt vmcnt(3) lgkmcnt(1)
	v_mul_f32_e32 v29, v32, v55
	v_mul_f32_e32 v44, v23, v51
	v_fma_f32 v27, v42, v48, -v27
	v_mul_f32_e32 v42, v42, v49
	v_fma_f32 v29, v43, v54, -v29
	v_mul_f32_e32 v43, v43, v55
	v_fmac_f32_e32 v42, v48, v24
	v_mul_f32_e32 v46, v9, v53
	v_fma_f32 v24, v41, v50, -v44
	v_mul_f32_e32 v41, v41, v51
	v_fmac_f32_e32 v43, v54, v32
	v_mul_f32_e32 v32, v25, v53
	v_fmac_f32_e32 v46, v52, v25
	v_fmac_f32_e32 v41, v50, v23
	v_fma_f32 v9, v9, v52, -v32
	v_add_f32_e32 v44, v42, v43
	v_add_f32_e32 v49, v41, v46
	v_sub_f32_e32 v25, v27, v29
	v_sub_f32_e32 v23, v5, v7
	;; [unrolled: 1-line block ×3, first 2 shown]
	v_add_f32_e32 v48, v47, v45
	v_add_f32_e32 v27, v27, v29
	;; [unrolled: 1-line block ×4, first 2 shown]
	v_sub_f32_e32 v29, v47, v45
	v_add_f32_e32 v47, v44, v49
	v_sub_f32_e32 v24, v23, v32
	v_sub_f32_e32 v45, v48, v49
	v_add_f32_e32 v51, v27, v7
	v_add_f32_e32 v47, v48, v47
	v_sub_f32_e32 v9, v42, v43
	v_sub_f32_e32 v42, v25, v23
	v_add_f32_e32 v23, v23, v32
	v_sub_f32_e32 v43, v44, v48
	v_mul_f32_e32 v52, 0xbf08b237, v24
	v_mul_f32_e32 v45, 0x3d64c772, v45
	v_add_f32_e32 v48, v5, v51
	v_add_f32_e32 v24, v31, v47
	;; [unrolled: 1-line block ×4, first 2 shown]
	v_mov_b32_e32 v31, v45
	v_mov_b32_e32 v40, v24
	v_fmac_f32_e32 v31, 0x3f4a47b2, v43
	v_fmac_f32_e32 v40, 0xbf955555, v47
	v_sub_f32_e32 v25, v32, v25
	v_mov_b32_e32 v47, v23
	v_add_f32_e32 v51, v31, v40
	v_sub_f32_e32 v31, v41, v46
	v_mul_f32_e32 v32, 0x3f5ff5aa, v25
	v_fmac_f32_e32 v47, 0xbf955555, v48
	v_mov_b32_e32 v48, v52
	v_sub_f32_e32 v41, v9, v29
	v_fma_f32 v46, v42, s7, -v32
	v_sub_f32_e32 v32, v29, v31
	v_add_f32_e32 v29, v29, v31
	v_fmac_f32_e32 v48, 0x3eae86e6, v42
	v_mul_f32_e32 v42, 0xbf08b237, v32
	v_add_f32_e32 v29, v9, v29
	v_sub_f32_e32 v9, v31, v9
	v_sub_f32_e32 v50, v27, v5
	v_mul_f32_e32 v54, 0x3f4a47b2, v43
	v_sub_f32_e32 v5, v5, v7
	v_sub_f32_e32 v43, v49, v44
	v_mov_b32_e32 v55, v42
	v_sub_f32_e32 v7, v7, v27
	v_mul_f32_e32 v27, 0x3f5ff5aa, v9
	v_fmac_f32_e32 v55, 0x3eae86e6, v41
	v_fma_f32 v27, v41, s7, -v27
	v_mul_f32_e32 v5, 0x3d64c772, v5
	v_fma_f32 v41, v43, s5, -v54
	v_fma_f32 v43, v43, s6, -v45
	v_mul_f32_e32 v44, 0x3f4a47b2, v50
	v_mov_b32_e32 v31, v5
	v_add_f32_e32 v49, v41, v40
	v_add_f32_e32 v45, v43, v40
	v_fma_f32 v40, v7, s5, -v44
	v_fmac_f32_e32 v31, 0x3f4a47b2, v50
	v_fmac_f32_e32 v46, 0x3ee1c552, v53
	v_fma_f32 v25, v25, s4, -v52
	v_add_f32_e32 v52, v40, v47
	v_fmac_f32_e32 v27, 0x3ee1c552, v29
	v_fma_f32 v5, v7, s6, -v5
	v_add_f32_e32 v50, v31, v47
	v_add_f32_e32 v41, v46, v49
	v_sub_f32_e32 v40, v52, v27
	v_add_f32_e32 v5, v5, v47
	v_sub_f32_e32 v47, v49, v46
	v_add_f32_e32 v46, v27, v52
	s_waitcnt vmcnt(1)
	v_mul_f32_e32 v27, v33, v16
	v_mul_f32_e32 v52, v30, v12
	;; [unrolled: 1-line block ×4, first 2 shown]
	v_fmac_f32_e32 v48, 0x3ee1c552, v53
	v_fmac_f32_e32 v25, 0x3ee1c552, v53
	v_fma_f32 v9, v9, s4, -v42
	v_fma_f32 v27, v38, v15, -v27
	;; [unrolled: 1-line block ×3, first 2 shown]
	v_fmac_f32_e32 v16, v15, v33
	v_mul_f32_e32 v15, v8, v18
	v_fmac_f32_e32 v12, v11, v30
	s_waitcnt vmcnt(0)
	v_mul_f32_e32 v11, v37, v22
	v_add_f32_e32 v32, v48, v51
	v_sub_f32_e32 v43, v45, v25
	v_fmac_f32_e32 v9, 0x3ee1c552, v29
	v_add_f32_e32 v45, v25, v45
	v_sub_f32_e32 v49, v51, v48
	v_mul_f32_e32 v7, v26, v14
	v_mul_f32_e32 v25, v28, v18
	;; [unrolled: 1-line block ×3, first 2 shown]
	v_fmac_f32_e32 v15, v17, v28
	v_fmac_f32_e32 v11, v21, v35
	v_add_f32_e32 v42, v9, v5
	v_sub_f32_e32 v44, v5, v9
	v_mul_f32_e32 v5, v56, v20
	v_fma_f32 v7, v10, v13, -v7
	v_fma_f32 v25, v8, v17, -v25
	;; [unrolled: 1-line block ×3, first 2 shown]
	v_mul_f32_e32 v10, v10, v14
	v_mul_f32_e32 v20, v39, v20
	v_add_f32_e32 v8, v15, v16
	v_add_f32_e32 v21, v11, v12
	v_fmac_f32_e32 v10, v13, v26
	v_fmac_f32_e32 v20, v19, v56
	v_sub_f32_e32 v6, v8, v21
	v_fma_f32 v5, v39, v19, -v5
	v_add_f32_e32 v19, v20, v10
	v_mul_f32_e32 v22, 0x3d64c772, v6
	v_sub_f32_e32 v17, v19, v8
	v_mov_b32_e32 v28, v22
	v_fmac_f32_e32 v55, 0x3ee1c552, v29
	v_sub_f32_e32 v9, v5, v7
	v_sub_f32_e32 v29, v25, v27
	v_mul_f32_e32 v18, 0x3f4a47b2, v17
	v_fmac_f32_e32 v28, 0x3f4a47b2, v17
	v_add_f32_e32 v17, v5, v7
	v_add_f32_e32 v5, v25, v27
	;; [unrolled: 1-line block ×3, first 2 shown]
	v_sub_f32_e32 v30, v5, v27
	v_mul_f32_e32 v30, 0x3d64c772, v30
	v_sub_f32_e32 v7, v17, v5
	v_mov_b32_e32 v33, v30
	v_mul_f32_e32 v25, 0x3f4a47b2, v7
	v_fmac_f32_e32 v33, 0x3f4a47b2, v7
	v_add_f32_e32 v7, v17, v27
	v_add_f32_e32 v6, v19, v21
	;; [unrolled: 1-line block ×3, first 2 shown]
	v_sub_f32_e32 v14, v51, v52
	v_add_f32_e32 v8, v8, v6
	v_add_f32_e32 v5, v36, v7
	v_sub_f32_e32 v31, v50, v55
	v_add_f32_e32 v48, v55, v50
	v_sub_f32_e32 v50, v9, v29
	v_sub_f32_e32 v13, v29, v14
	v_add_f32_e32 v29, v29, v14
	s_waitcnt lgkmcnt(0)
	v_add_f32_e32 v6, v0, v8
	v_mov_b32_e32 v35, v5
	v_sub_f32_e32 v11, v11, v12
	v_sub_f32_e32 v12, v14, v9
	v_add_f32_e32 v29, v9, v29
	v_mov_b32_e32 v0, v6
	v_fmac_f32_e32 v35, 0xbf955555, v7
	v_sub_f32_e32 v7, v15, v16
	v_mul_f32_e32 v9, 0x3f5ff5aa, v12
	v_sub_f32_e32 v14, v21, v19
	v_fmac_f32_e32 v0, 0xbf955555, v8
	v_sub_f32_e32 v20, v20, v10
	v_sub_f32_e32 v10, v7, v11
	v_fma_f32 v38, v50, s7, -v9
	v_fma_f32 v9, v14, s5, -v18
	v_sub_f32_e32 v17, v27, v17
	v_sub_f32_e32 v15, v20, v7
	v_mul_f32_e32 v16, 0xbf08b237, v10
	v_add_f32_e32 v7, v7, v11
	v_add_f32_e32 v18, v9, v0
	v_fma_f32 v9, v17, s5, -v25
	v_sub_f32_e32 v11, v11, v20
	v_mul_f32_e32 v13, 0xbf08b237, v13
	v_mov_b32_e32 v36, v16
	v_add_f32_e32 v21, v9, v35
	v_mul_f32_e32 v9, 0x3f5ff5aa, v11
	s_mov_b32 s5, 0x5397829d
	v_mov_b32_e32 v26, v13
	v_fmac_f32_e32 v36, 0x3eae86e6, v15
	v_fma_f32 v25, v15, s7, -v9
	v_fma_f32 v15, v12, s4, -v13
	v_mul_hi_u32 v13, v34, s5
	v_fma_f32 v19, v11, s4, -v16
	s_movk_i32 s4, 0xc4
	v_fma_f32 v14, v14, s6, -v22
	v_lshrrev_b32_e32 v11, 6, v13
	v_mul_lo_u32 v13, v11, s4
	v_add_f32_e32 v28, v28, v0
	v_add_f32_e32 v0, v14, v0
	;; [unrolled: 1-line block ×3, first 2 shown]
	v_sub_u32_e32 v22, v34, v13
	v_mad_u64_u32 v[13:14], s[0:1], s2, v22, 0
	v_fmac_f32_e32 v15, 0x3ee1c552, v29
	v_fma_f32 v11, v17, s6, -v30
	v_sub_f32_e32 v12, v0, v15
	v_fmac_f32_e32 v19, 0x3ee1c552, v37
	v_add_f32_e32 v17, v11, v35
	v_add_f32_e32 v16, v15, v0
	v_mov_b32_e32 v0, v14
	v_add_f32_e32 v11, v19, v17
	v_sub_f32_e32 v15, v17, v19
	v_mad_u64_u32 v[19:20], s[0:1], s3, v22, v[0:1]
	v_fmac_f32_e32 v25, 0x3ee1c552, v37
	v_sub_f32_e32 v9, v21, v25
	v_add_f32_e32 v17, v25, v21
	v_mov_b32_e32 v14, v19
	v_mov_b32_e32 v0, s11
	v_add_co_u32_e32 v19, vcc, s10, v3
	v_add_u32_e32 v25, 0xc4, v22
	v_addc_co_u32_e32 v4, vcc, v0, v4, vcc
	v_lshlrev_b64 v[0:1], 3, v[1:2]
	v_mad_u64_u32 v[2:3], s[0:1], s2, v25, 0
	v_fmac_f32_e32 v26, 0x3eae86e6, v50
	v_fmac_f32_e32 v26, 0x3ee1c552, v29
	v_add_co_u32_e32 v19, vcc, v19, v0
	v_add_f32_e32 v8, v26, v28
	v_sub_f32_e32 v21, v28, v26
	v_addc_co_u32_e32 v26, vcc, v4, v1, vcc
	v_lshlrev_b64 v[0:1], 3, v[13:14]
	v_mad_u64_u32 v[3:4], s[0:1], s3, v25, v[3:4]
	v_add_co_u32_e32 v0, vcc, v19, v0
	v_addc_co_u32_e32 v1, vcc, v26, v1, vcc
	v_add_u32_e32 v4, 0x188, v22
	global_store_dwordx2 v[0:1], v[5:6], off
	v_lshlrev_b64 v[0:1], 3, v[2:3]
	v_mad_u64_u32 v[2:3], s[0:1], s2, v4, 0
	v_add_u32_e32 v6, 0x24c, v22
	v_add_f32_e32 v33, v33, v35
	v_mad_u64_u32 v[3:4], s[0:1], s3, v4, v[3:4]
	v_mad_u64_u32 v[4:5], s[0:1], s2, v6, 0
	v_fmac_f32_e32 v36, 0x3ee1c552, v37
	v_add_co_u32_e32 v0, vcc, v19, v0
	v_add_f32_e32 v20, v36, v33
	v_addc_co_u32_e32 v1, vcc, v26, v1, vcc
	global_store_dwordx2 v[0:1], v[20:21], off
	v_lshlrev_b64 v[0:1], 3, v[2:3]
	v_mov_b32_e32 v2, v5
	v_mad_u64_u32 v[2:3], s[0:1], s3, v6, v[2:3]
	v_fmac_f32_e32 v38, 0x3ee1c552, v29
	v_add_co_u32_e32 v0, vcc, v19, v0
	v_add_f32_e32 v10, v38, v18
	v_sub_f32_e32 v18, v18, v38
	v_addc_co_u32_e32 v1, vcc, v26, v1, vcc
	v_mov_b32_e32 v5, v2
	global_store_dwordx2 v[0:1], v[17:18], off
	v_lshlrev_b64 v[0:1], 3, v[4:5]
	v_add_u32_e32 v4, 0x310, v22
	v_mad_u64_u32 v[2:3], s[0:1], s2, v4, 0
	v_add_u32_e32 v6, 0x3d4, v22
	v_add_co_u32_e32 v0, vcc, v19, v0
	v_mad_u64_u32 v[3:4], s[0:1], s3, v4, v[3:4]
	v_mad_u64_u32 v[4:5], s[0:1], s2, v6, 0
	v_addc_co_u32_e32 v1, vcc, v26, v1, vcc
	global_store_dwordx2 v[0:1], v[15:16], off
	v_lshlrev_b64 v[0:1], 3, v[2:3]
	v_mov_b32_e32 v2, v5
	v_mad_u64_u32 v[2:3], s[0:1], s3, v6, v[2:3]
	v_add_co_u32_e32 v0, vcc, v19, v0
	v_addc_co_u32_e32 v1, vcc, v26, v1, vcc
	v_mov_b32_e32 v5, v2
	global_store_dwordx2 v[0:1], v[11:12], off
	v_lshlrev_b64 v[0:1], 3, v[4:5]
	v_add_u32_e32 v4, 0x62, v34
	v_mul_hi_u32 v5, v4, s5
	v_add_u32_e32 v6, 0x498, v22
	v_mad_u64_u32 v[2:3], s[0:1], s2, v6, 0
	v_lshrrev_b32_e32 v5, 6, v5
	v_mul_lo_u32 v11, v5, s4
	s_movk_i32 s0, 0x55c
	v_add_co_u32_e32 v0, vcc, v19, v0
	v_sub_u32_e32 v4, v4, v11
	v_mad_u64_u32 v[4:5], s[0:1], v5, s0, v[4:5]
	v_addc_co_u32_e32 v1, vcc, v26, v1, vcc
	v_mad_u64_u32 v[5:6], s[0:1], s3, v6, v[3:4]
	v_mad_u64_u32 v[11:12], s[0:1], s2, v4, 0
	v_mov_b32_e32 v3, v5
	global_store_dwordx2 v[0:1], v[9:10], off
	v_lshlrev_b64 v[0:1], 3, v[2:3]
	v_mov_b32_e32 v2, v12
	v_mad_u64_u32 v[2:3], s[0:1], s3, v4, v[2:3]
	v_add_u32_e32 v5, 0xc4, v4
	v_add_co_u32_e32 v0, vcc, v19, v0
	v_mov_b32_e32 v12, v2
	v_mad_u64_u32 v[2:3], s[0:1], s2, v5, 0
	v_sub_f32_e32 v7, v33, v36
	v_addc_co_u32_e32 v1, vcc, v26, v1, vcc
	global_store_dwordx2 v[0:1], v[7:8], off
	v_mad_u64_u32 v[5:6], s[0:1], s3, v5, v[3:4]
	v_add_u32_e32 v8, 0x188, v4
	v_lshlrev_b64 v[0:1], 3, v[11:12]
	v_mad_u64_u32 v[6:7], s[0:1], s2, v8, 0
	v_add_co_u32_e32 v0, vcc, v19, v0
	v_addc_co_u32_e32 v1, vcc, v26, v1, vcc
	v_mov_b32_e32 v3, v5
	global_store_dwordx2 v[0:1], v[23:24], off
	v_lshlrev_b64 v[0:1], 3, v[2:3]
	v_mov_b32_e32 v2, v7
	v_mad_u64_u32 v[2:3], s[0:1], s3, v8, v[2:3]
	v_add_u32_e32 v5, 0x24c, v4
	v_add_co_u32_e32 v0, vcc, v19, v0
	v_mov_b32_e32 v7, v2
	v_mad_u64_u32 v[2:3], s[0:1], s2, v5, 0
	v_addc_co_u32_e32 v1, vcc, v26, v1, vcc
	global_store_dwordx2 v[0:1], v[48:49], off
	v_lshlrev_b64 v[0:1], 3, v[6:7]
	v_mad_u64_u32 v[5:6], s[0:1], s3, v5, v[3:4]
	v_add_u32_e32 v8, 0x310, v4
	v_mad_u64_u32 v[6:7], s[0:1], s2, v8, 0
	v_add_co_u32_e32 v0, vcc, v19, v0
	v_addc_co_u32_e32 v1, vcc, v26, v1, vcc
	v_mov_b32_e32 v3, v5
	global_store_dwordx2 v[0:1], v[46:47], off
	v_lshlrev_b64 v[0:1], 3, v[2:3]
	v_mov_b32_e32 v2, v7
	v_mad_u64_u32 v[2:3], s[0:1], s3, v8, v[2:3]
	v_add_u32_e32 v5, 0x3d4, v4
	v_add_co_u32_e32 v0, vcc, v19, v0
	v_mov_b32_e32 v7, v2
	v_mad_u64_u32 v[2:3], s[0:1], s2, v5, 0
	v_addc_co_u32_e32 v1, vcc, v26, v1, vcc
	global_store_dwordx2 v[0:1], v[44:45], off
	v_lshlrev_b64 v[0:1], 3, v[6:7]
	v_mad_u64_u32 v[5:6], s[0:1], s3, v5, v[3:4]
	v_add_u32_e32 v4, 0x498, v4
	v_mad_u64_u32 v[6:7], s[0:1], s2, v4, 0
	v_add_co_u32_e32 v0, vcc, v19, v0
	v_addc_co_u32_e32 v1, vcc, v26, v1, vcc
	v_mov_b32_e32 v3, v5
	global_store_dwordx2 v[0:1], v[42:43], off
	v_lshlrev_b64 v[0:1], 3, v[2:3]
	v_mov_b32_e32 v2, v7
	v_mad_u64_u32 v[2:3], s[0:1], s3, v4, v[2:3]
	v_add_co_u32_e32 v0, vcc, v19, v0
	v_addc_co_u32_e32 v1, vcc, v26, v1, vcc
	v_mov_b32_e32 v7, v2
	global_store_dwordx2 v[0:1], v[40:41], off
	v_lshlrev_b64 v[0:1], 3, v[6:7]
	v_add_co_u32_e32 v0, vcc, v19, v0
	v_addc_co_u32_e32 v1, vcc, v26, v1, vcc
	global_store_dwordx2 v[0:1], v[31:32], off
.LBB0_15:
	s_endpgm
	.section	.rodata,"a",@progbits
	.p2align	6, 0x0
	.amdhsa_kernel fft_rtc_fwd_len1372_factors_2_2_7_7_7_wgs_196_tpt_98_halfLds_sp_op_CI_CI_sbrr_dirReg
		.amdhsa_group_segment_fixed_size 0
		.amdhsa_private_segment_fixed_size 0
		.amdhsa_kernarg_size 104
		.amdhsa_user_sgpr_count 6
		.amdhsa_user_sgpr_private_segment_buffer 1
		.amdhsa_user_sgpr_dispatch_ptr 0
		.amdhsa_user_sgpr_queue_ptr 0
		.amdhsa_user_sgpr_kernarg_segment_ptr 1
		.amdhsa_user_sgpr_dispatch_id 0
		.amdhsa_user_sgpr_flat_scratch_init 0
		.amdhsa_user_sgpr_private_segment_size 0
		.amdhsa_uses_dynamic_stack 0
		.amdhsa_system_sgpr_private_segment_wavefront_offset 0
		.amdhsa_system_sgpr_workgroup_id_x 1
		.amdhsa_system_sgpr_workgroup_id_y 0
		.amdhsa_system_sgpr_workgroup_id_z 0
		.amdhsa_system_sgpr_workgroup_info 0
		.amdhsa_system_vgpr_workitem_id 0
		.amdhsa_next_free_vgpr 66
		.amdhsa_next_free_sgpr 32
		.amdhsa_reserve_vcc 1
		.amdhsa_reserve_flat_scratch 0
		.amdhsa_float_round_mode_32 0
		.amdhsa_float_round_mode_16_64 0
		.amdhsa_float_denorm_mode_32 3
		.amdhsa_float_denorm_mode_16_64 3
		.amdhsa_dx10_clamp 1
		.amdhsa_ieee_mode 1
		.amdhsa_fp16_overflow 0
		.amdhsa_exception_fp_ieee_invalid_op 0
		.amdhsa_exception_fp_denorm_src 0
		.amdhsa_exception_fp_ieee_div_zero 0
		.amdhsa_exception_fp_ieee_overflow 0
		.amdhsa_exception_fp_ieee_underflow 0
		.amdhsa_exception_fp_ieee_inexact 0
		.amdhsa_exception_int_div_zero 0
	.end_amdhsa_kernel
	.text
.Lfunc_end0:
	.size	fft_rtc_fwd_len1372_factors_2_2_7_7_7_wgs_196_tpt_98_halfLds_sp_op_CI_CI_sbrr_dirReg, .Lfunc_end0-fft_rtc_fwd_len1372_factors_2_2_7_7_7_wgs_196_tpt_98_halfLds_sp_op_CI_CI_sbrr_dirReg
                                        ; -- End function
	.section	.AMDGPU.csdata,"",@progbits
; Kernel info:
; codeLenInByte = 9292
; NumSgprs: 36
; NumVgprs: 66
; ScratchSize: 0
; MemoryBound: 0
; FloatMode: 240
; IeeeMode: 1
; LDSByteSize: 0 bytes/workgroup (compile time only)
; SGPRBlocks: 4
; VGPRBlocks: 16
; NumSGPRsForWavesPerEU: 36
; NumVGPRsForWavesPerEU: 66
; Occupancy: 3
; WaveLimiterHint : 1
; COMPUTE_PGM_RSRC2:SCRATCH_EN: 0
; COMPUTE_PGM_RSRC2:USER_SGPR: 6
; COMPUTE_PGM_RSRC2:TRAP_HANDLER: 0
; COMPUTE_PGM_RSRC2:TGID_X_EN: 1
; COMPUTE_PGM_RSRC2:TGID_Y_EN: 0
; COMPUTE_PGM_RSRC2:TGID_Z_EN: 0
; COMPUTE_PGM_RSRC2:TIDIG_COMP_CNT: 0
	.type	__hip_cuid_f61010ce1f97f1f5,@object ; @__hip_cuid_f61010ce1f97f1f5
	.section	.bss,"aw",@nobits
	.globl	__hip_cuid_f61010ce1f97f1f5
__hip_cuid_f61010ce1f97f1f5:
	.byte	0                               ; 0x0
	.size	__hip_cuid_f61010ce1f97f1f5, 1

	.ident	"AMD clang version 19.0.0git (https://github.com/RadeonOpenCompute/llvm-project roc-6.4.0 25133 c7fe45cf4b819c5991fe208aaa96edf142730f1d)"
	.section	".note.GNU-stack","",@progbits
	.addrsig
	.addrsig_sym __hip_cuid_f61010ce1f97f1f5
	.amdgpu_metadata
---
amdhsa.kernels:
  - .args:
      - .actual_access:  read_only
        .address_space:  global
        .offset:         0
        .size:           8
        .value_kind:     global_buffer
      - .offset:         8
        .size:           8
        .value_kind:     by_value
      - .actual_access:  read_only
        .address_space:  global
        .offset:         16
        .size:           8
        .value_kind:     global_buffer
      - .actual_access:  read_only
        .address_space:  global
        .offset:         24
        .size:           8
        .value_kind:     global_buffer
      - .actual_access:  read_only
        .address_space:  global
        .offset:         32
        .size:           8
        .value_kind:     global_buffer
      - .offset:         40
        .size:           8
        .value_kind:     by_value
      - .actual_access:  read_only
        .address_space:  global
        .offset:         48
        .size:           8
        .value_kind:     global_buffer
      - .actual_access:  read_only
        .address_space:  global
        .offset:         56
        .size:           8
        .value_kind:     global_buffer
      - .offset:         64
        .size:           4
        .value_kind:     by_value
      - .actual_access:  read_only
        .address_space:  global
        .offset:         72
        .size:           8
        .value_kind:     global_buffer
      - .actual_access:  read_only
        .address_space:  global
        .offset:         80
        .size:           8
        .value_kind:     global_buffer
      - .actual_access:  read_only
        .address_space:  global
        .offset:         88
        .size:           8
        .value_kind:     global_buffer
      - .actual_access:  write_only
        .address_space:  global
        .offset:         96
        .size:           8
        .value_kind:     global_buffer
    .group_segment_fixed_size: 0
    .kernarg_segment_align: 8
    .kernarg_segment_size: 104
    .language:       OpenCL C
    .language_version:
      - 2
      - 0
    .max_flat_workgroup_size: 196
    .name:           fft_rtc_fwd_len1372_factors_2_2_7_7_7_wgs_196_tpt_98_halfLds_sp_op_CI_CI_sbrr_dirReg
    .private_segment_fixed_size: 0
    .sgpr_count:     36
    .sgpr_spill_count: 0
    .symbol:         fft_rtc_fwd_len1372_factors_2_2_7_7_7_wgs_196_tpt_98_halfLds_sp_op_CI_CI_sbrr_dirReg.kd
    .uniform_work_group_size: 1
    .uses_dynamic_stack: false
    .vgpr_count:     66
    .vgpr_spill_count: 0
    .wavefront_size: 64
amdhsa.target:   amdgcn-amd-amdhsa--gfx906
amdhsa.version:
  - 1
  - 2
...

	.end_amdgpu_metadata
